;; amdgpu-corpus repo=ROCm/rocFFT kind=compiled arch=gfx906 opt=O3
	.text
	.amdgcn_target "amdgcn-amd-amdhsa--gfx906"
	.amdhsa_code_object_version 6
	.protected	fft_rtc_fwd_len567_factors_7_9_3_3_wgs_63_tpt_63_dp_op_CI_CI_unitstride_sbrr_dirReg ; -- Begin function fft_rtc_fwd_len567_factors_7_9_3_3_wgs_63_tpt_63_dp_op_CI_CI_unitstride_sbrr_dirReg
	.globl	fft_rtc_fwd_len567_factors_7_9_3_3_wgs_63_tpt_63_dp_op_CI_CI_unitstride_sbrr_dirReg
	.p2align	8
	.type	fft_rtc_fwd_len567_factors_7_9_3_3_wgs_63_tpt_63_dp_op_CI_CI_unitstride_sbrr_dirReg,@function
fft_rtc_fwd_len567_factors_7_9_3_3_wgs_63_tpt_63_dp_op_CI_CI_unitstride_sbrr_dirReg: ; @fft_rtc_fwd_len567_factors_7_9_3_3_wgs_63_tpt_63_dp_op_CI_CI_unitstride_sbrr_dirReg
; %bb.0:
	s_load_dwordx4 s[8:11], s[4:5], 0x58
	s_load_dwordx4 s[12:15], s[4:5], 0x0
	;; [unrolled: 1-line block ×3, first 2 shown]
	v_mul_u32_u24_e32 v1, 0x411, v0
	v_add_u32_sdwa v5, s6, v1 dst_sel:DWORD dst_unused:UNUSED_PAD src0_sel:DWORD src1_sel:WORD_1
	v_mov_b32_e32 v3, 0
	s_waitcnt lgkmcnt(0)
	v_cmp_lt_u64_e64 s[0:1], s[14:15], 2
	v_mov_b32_e32 v1, 0
	v_mov_b32_e32 v6, v3
	s_and_b64 vcc, exec, s[0:1]
	v_mov_b32_e32 v2, 0
	s_cbranch_vccnz .LBB0_8
; %bb.1:
	s_load_dwordx2 s[0:1], s[4:5], 0x10
	s_add_u32 s2, s18, 8
	s_addc_u32 s3, s19, 0
	s_add_u32 s6, s16, 8
	v_mov_b32_e32 v1, 0
	s_addc_u32 s7, s17, 0
	v_mov_b32_e32 v2, 0
	s_waitcnt lgkmcnt(0)
	s_add_u32 s20, s0, 8
	v_mov_b32_e32 v29, v2
	s_addc_u32 s21, s1, 0
	s_mov_b64 s[22:23], 1
	v_mov_b32_e32 v28, v1
.LBB0_2:                                ; =>This Inner Loop Header: Depth=1
	s_load_dwordx2 s[24:25], s[20:21], 0x0
                                        ; implicit-def: $vgpr30_vgpr31
	s_waitcnt lgkmcnt(0)
	v_or_b32_e32 v4, s25, v6
	v_cmp_ne_u64_e32 vcc, 0, v[3:4]
	s_and_saveexec_b64 s[0:1], vcc
	s_xor_b64 s[26:27], exec, s[0:1]
	s_cbranch_execz .LBB0_4
; %bb.3:                                ;   in Loop: Header=BB0_2 Depth=1
	v_cvt_f32_u32_e32 v4, s24
	v_cvt_f32_u32_e32 v7, s25
	s_sub_u32 s0, 0, s24
	s_subb_u32 s1, 0, s25
	v_mac_f32_e32 v4, 0x4f800000, v7
	v_rcp_f32_e32 v4, v4
	v_mul_f32_e32 v4, 0x5f7ffffc, v4
	v_mul_f32_e32 v7, 0x2f800000, v4
	v_trunc_f32_e32 v7, v7
	v_mac_f32_e32 v4, 0xcf800000, v7
	v_cvt_u32_f32_e32 v7, v7
	v_cvt_u32_f32_e32 v4, v4
	v_mul_lo_u32 v8, s0, v7
	v_mul_hi_u32 v9, s0, v4
	v_mul_lo_u32 v11, s1, v4
	v_mul_lo_u32 v10, s0, v4
	v_add_u32_e32 v8, v9, v8
	v_add_u32_e32 v8, v8, v11
	v_mul_hi_u32 v9, v4, v10
	v_mul_lo_u32 v11, v4, v8
	v_mul_hi_u32 v13, v4, v8
	v_mul_hi_u32 v12, v7, v10
	v_mul_lo_u32 v10, v7, v10
	v_mul_hi_u32 v14, v7, v8
	v_add_co_u32_e32 v9, vcc, v9, v11
	v_addc_co_u32_e32 v11, vcc, 0, v13, vcc
	v_mul_lo_u32 v8, v7, v8
	v_add_co_u32_e32 v9, vcc, v9, v10
	v_addc_co_u32_e32 v9, vcc, v11, v12, vcc
	v_addc_co_u32_e32 v10, vcc, 0, v14, vcc
	v_add_co_u32_e32 v8, vcc, v9, v8
	v_addc_co_u32_e32 v9, vcc, 0, v10, vcc
	v_add_co_u32_e32 v4, vcc, v4, v8
	v_addc_co_u32_e32 v7, vcc, v7, v9, vcc
	v_mul_lo_u32 v8, s0, v7
	v_mul_hi_u32 v9, s0, v4
	v_mul_lo_u32 v10, s1, v4
	v_mul_lo_u32 v11, s0, v4
	v_add_u32_e32 v8, v9, v8
	v_add_u32_e32 v8, v8, v10
	v_mul_lo_u32 v12, v4, v8
	v_mul_hi_u32 v13, v4, v11
	v_mul_hi_u32 v14, v4, v8
	v_mul_hi_u32 v10, v7, v11
	v_mul_lo_u32 v11, v7, v11
	v_mul_hi_u32 v9, v7, v8
	v_add_co_u32_e32 v12, vcc, v13, v12
	v_addc_co_u32_e32 v13, vcc, 0, v14, vcc
	v_mul_lo_u32 v8, v7, v8
	v_add_co_u32_e32 v11, vcc, v12, v11
	v_addc_co_u32_e32 v10, vcc, v13, v10, vcc
	v_addc_co_u32_e32 v9, vcc, 0, v9, vcc
	v_add_co_u32_e32 v8, vcc, v10, v8
	v_addc_co_u32_e32 v9, vcc, 0, v9, vcc
	v_add_co_u32_e32 v4, vcc, v4, v8
	v_addc_co_u32_e32 v9, vcc, v7, v9, vcc
	v_mad_u64_u32 v[7:8], s[0:1], v5, v9, 0
	v_mul_hi_u32 v10, v5, v4
	v_add_co_u32_e32 v11, vcc, v10, v7
	v_addc_co_u32_e32 v12, vcc, 0, v8, vcc
	v_mad_u64_u32 v[7:8], s[0:1], v6, v4, 0
	v_mad_u64_u32 v[9:10], s[0:1], v6, v9, 0
	v_add_co_u32_e32 v4, vcc, v11, v7
	v_addc_co_u32_e32 v4, vcc, v12, v8, vcc
	v_addc_co_u32_e32 v7, vcc, 0, v10, vcc
	v_add_co_u32_e32 v4, vcc, v4, v9
	v_addc_co_u32_e32 v9, vcc, 0, v7, vcc
	v_mul_lo_u32 v10, s25, v4
	v_mul_lo_u32 v11, s24, v9
	v_mad_u64_u32 v[7:8], s[0:1], s24, v4, 0
	v_add3_u32 v8, v8, v11, v10
	v_sub_u32_e32 v10, v6, v8
	v_mov_b32_e32 v11, s25
	v_sub_co_u32_e32 v7, vcc, v5, v7
	v_subb_co_u32_e64 v10, s[0:1], v10, v11, vcc
	v_subrev_co_u32_e64 v11, s[0:1], s24, v7
	v_subbrev_co_u32_e64 v10, s[0:1], 0, v10, s[0:1]
	v_cmp_le_u32_e64 s[0:1], s25, v10
	v_cndmask_b32_e64 v12, 0, -1, s[0:1]
	v_cmp_le_u32_e64 s[0:1], s24, v11
	v_cndmask_b32_e64 v11, 0, -1, s[0:1]
	v_cmp_eq_u32_e64 s[0:1], s25, v10
	v_cndmask_b32_e64 v10, v12, v11, s[0:1]
	v_add_co_u32_e64 v11, s[0:1], 2, v4
	v_addc_co_u32_e64 v12, s[0:1], 0, v9, s[0:1]
	v_add_co_u32_e64 v13, s[0:1], 1, v4
	v_addc_co_u32_e64 v14, s[0:1], 0, v9, s[0:1]
	v_subb_co_u32_e32 v8, vcc, v6, v8, vcc
	v_cmp_ne_u32_e64 s[0:1], 0, v10
	v_cmp_le_u32_e32 vcc, s25, v8
	v_cndmask_b32_e64 v10, v14, v12, s[0:1]
	v_cndmask_b32_e64 v12, 0, -1, vcc
	v_cmp_le_u32_e32 vcc, s24, v7
	v_cndmask_b32_e64 v7, 0, -1, vcc
	v_cmp_eq_u32_e32 vcc, s25, v8
	v_cndmask_b32_e32 v7, v12, v7, vcc
	v_cmp_ne_u32_e32 vcc, 0, v7
	v_cndmask_b32_e64 v7, v13, v11, s[0:1]
	v_cndmask_b32_e32 v31, v9, v10, vcc
	v_cndmask_b32_e32 v30, v4, v7, vcc
.LBB0_4:                                ;   in Loop: Header=BB0_2 Depth=1
	s_andn2_saveexec_b64 s[0:1], s[26:27]
	s_cbranch_execz .LBB0_6
; %bb.5:                                ;   in Loop: Header=BB0_2 Depth=1
	v_cvt_f32_u32_e32 v4, s24
	s_sub_i32 s26, 0, s24
	v_mov_b32_e32 v31, v3
	v_rcp_iflag_f32_e32 v4, v4
	v_mul_f32_e32 v4, 0x4f7ffffe, v4
	v_cvt_u32_f32_e32 v4, v4
	v_mul_lo_u32 v7, s26, v4
	v_mul_hi_u32 v7, v4, v7
	v_add_u32_e32 v4, v4, v7
	v_mul_hi_u32 v4, v5, v4
	v_mul_lo_u32 v7, v4, s24
	v_add_u32_e32 v8, 1, v4
	v_sub_u32_e32 v7, v5, v7
	v_subrev_u32_e32 v9, s24, v7
	v_cmp_le_u32_e32 vcc, s24, v7
	v_cndmask_b32_e32 v7, v7, v9, vcc
	v_cndmask_b32_e32 v4, v4, v8, vcc
	v_add_u32_e32 v8, 1, v4
	v_cmp_le_u32_e32 vcc, s24, v7
	v_cndmask_b32_e32 v30, v4, v8, vcc
.LBB0_6:                                ;   in Loop: Header=BB0_2 Depth=1
	s_or_b64 exec, exec, s[0:1]
	v_mul_lo_u32 v4, v31, s24
	v_mul_lo_u32 v9, v30, s25
	v_mad_u64_u32 v[7:8], s[0:1], v30, s24, 0
	s_load_dwordx2 s[0:1], s[6:7], 0x0
	s_load_dwordx2 s[24:25], s[2:3], 0x0
	v_add3_u32 v4, v8, v9, v4
	v_sub_co_u32_e32 v5, vcc, v5, v7
	v_subb_co_u32_e32 v4, vcc, v6, v4, vcc
	s_waitcnt lgkmcnt(0)
	v_mul_lo_u32 v6, s0, v4
	v_mul_lo_u32 v7, s1, v5
	v_mad_u64_u32 v[1:2], s[0:1], s0, v5, v[1:2]
	v_mul_lo_u32 v4, s24, v4
	v_mul_lo_u32 v8, s25, v5
	v_mad_u64_u32 v[28:29], s[0:1], s24, v5, v[28:29]
	s_add_u32 s22, s22, 1
	s_addc_u32 s23, s23, 0
	s_add_u32 s2, s2, 8
	v_add3_u32 v29, v8, v29, v4
	s_addc_u32 s3, s3, 0
	v_mov_b32_e32 v4, s14
	s_add_u32 s6, s6, 8
	v_mov_b32_e32 v5, s15
	s_addc_u32 s7, s7, 0
	v_cmp_ge_u64_e32 vcc, s[22:23], v[4:5]
	s_add_u32 s20, s20, 8
	v_add3_u32 v2, v7, v2, v6
	s_addc_u32 s21, s21, 0
	s_cbranch_vccnz .LBB0_9
; %bb.7:                                ;   in Loop: Header=BB0_2 Depth=1
	v_mov_b32_e32 v5, v30
	v_mov_b32_e32 v6, v31
	s_branch .LBB0_2
.LBB0_8:
	v_mov_b32_e32 v29, v2
	v_mov_b32_e32 v31, v6
	;; [unrolled: 1-line block ×4, first 2 shown]
.LBB0_9:
	s_load_dwordx2 s[4:5], s[4:5], 0x28
	s_lshl_b64 s[6:7], s[14:15], 3
	s_add_u32 s2, s18, s6
	s_addc_u32 s3, s19, s7
                                        ; implicit-def: $vgpr32
                                        ; implicit-def: $vgpr34
	s_waitcnt lgkmcnt(0)
	v_cmp_gt_u64_e64 s[0:1], s[4:5], v[30:31]
	v_cmp_le_u64_e32 vcc, s[4:5], v[30:31]
	s_and_saveexec_b64 s[4:5], vcc
	s_xor_b64 s[4:5], exec, s[4:5]
; %bb.10:
	s_mov_b32 s14, 0x4104105
	v_mul_hi_u32 v1, v0, s14
	v_mul_u32_u24_e32 v1, 63, v1
	v_sub_u32_e32 v32, v0, v1
	v_add_u32_e32 v34, 63, v32
                                        ; implicit-def: $vgpr0
                                        ; implicit-def: $vgpr1_vgpr2
; %bb.11:
	s_andn2_saveexec_b64 s[4:5], s[4:5]
	s_cbranch_execz .LBB0_13
; %bb.12:
	s_add_u32 s6, s16, s6
	s_addc_u32 s7, s17, s7
	s_load_dwordx2 s[6:7], s[6:7], 0x0
	s_mov_b32 s14, 0x4104105
	v_mul_hi_u32 v5, v0, s14
	s_waitcnt lgkmcnt(0)
	v_mul_lo_u32 v6, s7, v30
	v_mul_lo_u32 v7, s6, v31
	v_mad_u64_u32 v[3:4], s[6:7], s6, v30, 0
	v_mul_u32_u24_e32 v5, 63, v5
	v_sub_u32_e32 v32, v0, v5
	v_add3_u32 v4, v4, v7, v6
	v_lshlrev_b64 v[3:4], 4, v[3:4]
	v_mov_b32_e32 v0, s9
	v_add_co_u32_e32 v3, vcc, s8, v3
	v_addc_co_u32_e32 v4, vcc, v0, v4, vcc
	v_lshlrev_b64 v[0:1], 4, v[1:2]
	v_lshlrev_b32_e32 v45, 4, v32
	v_add_co_u32_e32 v0, vcc, v3, v0
	v_addc_co_u32_e32 v1, vcc, v4, v1, vcc
	v_add_co_u32_e32 v33, vcc, v0, v45
	v_addc_co_u32_e32 v34, vcc, 0, v1, vcc
	v_add_co_u32_e32 v43, vcc, 0x1000, v33
	global_load_dwordx4 v[0:3], v[33:34], off
	global_load_dwordx4 v[4:7], v[33:34], off offset:1008
	global_load_dwordx4 v[8:11], v[33:34], off offset:2016
	;; [unrolled: 1-line block ×3, first 2 shown]
	v_addc_co_u32_e32 v44, vcc, 0, v34, vcc
	global_load_dwordx4 v[16:19], v[33:34], off offset:4032
	global_load_dwordx4 v[20:23], v[43:44], off offset:944
	;; [unrolled: 1-line block ×5, first 2 shown]
	v_add_u32_e32 v34, 63, v32
	v_add_u32_e32 v33, 0, v45
	s_waitcnt vmcnt(8)
	ds_write_b128 v33, v[0:3]
	s_waitcnt vmcnt(7)
	ds_write_b128 v33, v[4:7] offset:1008
	s_waitcnt vmcnt(6)
	ds_write_b128 v33, v[8:11] offset:2016
	;; [unrolled: 2-line block ×8, first 2 shown]
.LBB0_13:
	s_or_b64 exec, exec, s[4:5]
	v_lshl_add_u32 v33, v32, 4, 0
	s_load_dwordx2 s[2:3], s[2:3], 0x0
	s_waitcnt lgkmcnt(0)
	; wave barrier
	s_waitcnt lgkmcnt(0)
	ds_read_b128 v[8:11], v33 offset:1296
	ds_read_b128 v[12:15], v33 offset:7776
	;; [unrolled: 1-line block ×4, first 2 shown]
	ds_read_b128 v[39:42], v33
	ds_read_b128 v[0:3], v33 offset:1008
	ds_read_b128 v[4:7], v33 offset:2304
	ds_read_b128 v[16:19], v33 offset:8784
	ds_read_b128 v[24:27], v33 offset:2592
	s_waitcnt lgkmcnt(7)
	v_add_f64 v[47:48], v[8:9], v[12:13]
	v_add_f64 v[49:50], v[10:11], v[14:15]
	v_add_f64 v[51:52], v[8:9], -v[12:13]
	v_add_f64 v[53:54], v[10:11], -v[14:15]
	s_waitcnt lgkmcnt(0)
	v_add_f64 v[55:56], v[24:25], v[20:21]
	v_add_f64 v[57:58], v[26:27], v[22:23]
	ds_read_b128 v[8:11], v33 offset:3600
	ds_read_b128 v[12:15], v33 offset:7488
	ds_read_b128 v[43:46], v33 offset:3888
	v_add_f64 v[59:60], v[24:25], -v[20:21]
	v_add_f64 v[61:62], v[26:27], -v[22:23]
	s_mov_b32 s22, 0x37e14327
	s_mov_b32 s16, 0x36b3c0b5
	s_waitcnt lgkmcnt(0)
	v_add_f64 v[63:64], v[43:44], v[35:36]
	v_add_f64 v[65:66], v[45:46], v[37:38]
	v_add_f64 v[35:36], v[35:36], -v[43:44]
	v_add_f64 v[37:38], v[37:38], -v[45:46]
	v_add_f64 v[43:44], v[55:56], v[47:48]
	v_add_f64 v[45:46], v[57:58], v[49:50]
	v_add_f64 v[67:68], v[55:56], -v[47:48]
	v_add_f64 v[69:70], v[57:58], -v[49:50]
	;; [unrolled: 1-line block ×5, first 2 shown]
	s_mov_b32 s23, 0x3fe948f6
	v_add_f64 v[43:44], v[63:64], v[43:44]
	v_add_f64 v[45:46], v[65:66], v[45:46]
	s_mov_b32 s17, 0x3fac98ee
	v_add_f64 v[57:58], v[65:66], -v[57:58]
	v_add_f64 v[71:72], v[35:36], v[59:60]
	v_add_f64 v[73:74], v[37:38], v[61:62]
	v_add_f64 v[75:76], v[35:36], -v[59:60]
	v_add_f64 v[63:64], v[37:38], -v[61:62]
	;; [unrolled: 1-line block ×6, first 2 shown]
	v_add_f64 v[36:37], v[39:40], v[43:44]
	v_add_f64 v[38:39], v[41:42], v[45:46]
	v_mul_f64 v[40:41], v[47:48], s[22:23]
	v_mul_f64 v[47:48], v[49:50], s[22:23]
	;; [unrolled: 1-line block ×3, first 2 shown]
	s_mov_b32 s26, 0xe976ee23
	s_mov_b32 s4, 0x429ad128
	;; [unrolled: 1-line block ×8, first 2 shown]
	v_add_f64 v[51:52], v[71:72], v[51:52]
	v_add_f64 v[53:54], v[73:74], v[53:54]
	v_mul_f64 v[71:72], v[57:58], s[16:17]
	v_mul_f64 v[73:74], v[75:76], s[26:27]
	;; [unrolled: 1-line block ×4, first 2 shown]
	v_fma_f64 v[55:56], v[55:56], s[16:17], v[40:41]
	v_fma_f64 v[49:50], v[67:68], s[6:7], -v[49:50]
	v_fma_f64 v[40:41], v[67:68], s[8:9], -v[40:41]
	v_mul_f64 v[67:68], v[61:62], s[4:5]
	s_mov_b32 s28, 0xaaaaaaaa
	s_mov_b32 s24, 0xb247c609
	;; [unrolled: 1-line block ×6, first 2 shown]
	v_fma_f64 v[42:43], v[43:44], s[28:29], v[36:37]
	v_fma_f64 v[57:58], v[57:58], s[16:17], v[47:48]
	v_fma_f64 v[71:72], v[69:70], s[6:7], -v[71:72]
	v_fma_f64 v[47:48], v[69:70], s[8:9], -v[47:48]
	v_fma_f64 v[69:70], v[65:66], s[24:25], v[73:74]
	v_fma_f64 v[59:60], v[59:60], s[4:5], -v[73:74]
	v_fma_f64 v[44:45], v[45:46], s[28:29], v[38:39]
	v_fma_f64 v[65:66], v[65:66], s[20:21], -v[75:76]
	v_fma_f64 v[61:62], v[61:62], s[4:5], -v[63:64]
	v_fma_f64 v[63:64], v[77:78], s[24:25], v[63:64]
	v_fma_f64 v[67:68], v[77:78], s[20:21], -v[67:68]
	s_mov_b32 s18, 0x37c3f68c
	s_mov_b32 s19, 0x3fdc38aa
	v_add_f64 v[73:74], v[55:56], v[42:43]
	v_add_f64 v[49:50], v[49:50], v[42:43]
	;; [unrolled: 1-line block ×4, first 2 shown]
	v_fma_f64 v[61:62], v[53:54], s[18:19], v[61:62]
	v_fma_f64 v[59:60], v[51:52], s[18:19], v[59:60]
	v_add_f64 v[75:76], v[57:58], v[44:45]
	v_add_f64 v[57:58], v[47:48], v[44:45]
	v_fma_f64 v[67:68], v[53:54], s[18:19], v[67:68]
	v_fma_f64 v[65:66], v[51:52], s[18:19], v[65:66]
	;; [unrolled: 1-line block ×4, first 2 shown]
	v_add_f64 v[40:41], v[49:50], -v[61:62]
	v_add_f64 v[42:43], v[59:60], v[71:72]
	v_add_f64 v[44:45], v[49:50], v[61:62]
	v_add_f64 v[46:47], v[71:72], -v[59:60]
	v_add_f64 v[48:49], v[55:56], v[67:68]
	v_add_f64 v[50:51], v[57:58], -v[65:66]
	v_add_f64 v[52:53], v[55:56], -v[67:68]
	v_add_f64 v[54:55], v[65:66], v[57:58]
	v_add_f64 v[56:57], v[73:74], v[63:64]
	v_add_f64 v[58:59], v[75:76], -v[69:70]
	ds_read_b128 v[20:23], v33 offset:4896
	ds_read_b128 v[24:27], v33 offset:6192
	v_add_f64 v[60:61], v[73:74], -v[63:64]
	v_add_f64 v[62:63], v[69:70], v[75:76]
	s_movk_i32 s14, 0x60
	v_mad_u32_u24 v35, v32, s14, v33
	v_cmp_gt_u32_e32 vcc, 18, v32
	s_waitcnt lgkmcnt(0)
	; wave barrier
	s_waitcnt lgkmcnt(0)
	ds_write_b128 v35, v[36:39]
	ds_write_b128 v35, v[56:59] offset:16
	ds_write_b128 v35, v[48:51] offset:32
	;; [unrolled: 1-line block ×6, first 2 shown]
	s_and_saveexec_b64 s[14:15], vcc
	s_cbranch_execz .LBB0_15
; %bb.14:
	v_add_f64 v[40:41], v[6:7], v[18:19]
	v_add_f64 v[42:43], v[10:11], v[14:15]
	v_add_f64 v[36:37], v[24:25], -v[20:21]
	v_add_f64 v[38:39], v[8:9], -v[12:13]
	;; [unrolled: 1-line block ×3, first 2 shown]
	v_add_f64 v[4:5], v[4:5], v[16:17]
	v_add_f64 v[8:9], v[8:9], v[12:13]
	;; [unrolled: 1-line block ×5, first 2 shown]
	v_add_f64 v[6:7], v[6:7], -v[18:19]
	v_add_f64 v[12:13], v[36:37], -v[38:39]
	;; [unrolled: 1-line block ×3, first 2 shown]
	v_add_f64 v[24:25], v[36:37], v[38:39]
	v_add_f64 v[36:37], v[8:9], v[4:5]
	v_add_f64 v[22:23], v[26:27], -v[22:23]
	v_add_f64 v[10:11], v[10:11], -v[14:15]
	v_add_f64 v[16:17], v[46:47], v[16:17]
	v_add_f64 v[14:15], v[40:41], -v[46:47]
	v_add_f64 v[38:39], v[38:39], -v[44:45]
	;; [unrolled: 1-line block ×4, first 2 shown]
	v_add_f64 v[36:37], v[20:21], v[36:37]
	v_add_f64 v[52:53], v[6:7], -v[22:23]
	v_add_f64 v[50:51], v[22:23], -v[10:11]
	v_add_f64 v[2:3], v[2:3], v[16:17]
	v_mul_f64 v[14:15], v[14:15], s[22:23]
	v_add_f64 v[22:23], v[22:23], v[10:11]
	v_add_f64 v[40:41], v[42:43], -v[40:41]
	v_add_f64 v[10:11], v[10:11], -v[6:7]
	v_mul_f64 v[12:13], v[12:13], s[26:27]
	v_add_f64 v[20:21], v[20:21], -v[8:9]
	v_mul_f64 v[54:55], v[38:39], s[4:5]
	v_add_f64 v[0:1], v[0:1], v[36:37]
	v_mul_f64 v[48:49], v[48:49], s[22:23]
	v_mul_f64 v[50:51], v[50:51], s[26:27]
	v_add_f64 v[24:25], v[24:25], v[44:45]
	v_mul_f64 v[44:45], v[26:27], s[16:17]
	v_fma_f64 v[16:17], v[16:17], s[28:29], v[2:3]
	v_fma_f64 v[26:27], v[26:27], s[16:17], v[14:15]
	v_fma_f64 v[14:15], v[40:41], s[8:9], -v[14:15]
	v_add_f64 v[4:5], v[8:9], -v[4:5]
	v_mul_f64 v[8:9], v[10:11], s[4:5]
	v_fma_f64 v[46:47], v[18:19], s[24:25], v[12:13]
	v_add_f64 v[22:23], v[22:23], v[6:7]
	v_mul_f64 v[6:7], v[20:21], s[16:17]
	v_fma_f64 v[18:19], v[18:19], s[20:21], -v[54:55]
	v_fma_f64 v[36:37], v[36:37], s[28:29], v[0:1]
	v_fma_f64 v[42:43], v[20:21], s[16:17], v[48:49]
	;; [unrolled: 1-line block ×3, first 2 shown]
	v_fma_f64 v[40:41], v[40:41], s[6:7], -v[44:45]
	v_add_f64 v[44:45], v[14:15], v[16:17]
	v_fma_f64 v[14:15], v[4:5], s[8:9], -v[48:49]
	v_fma_f64 v[8:9], v[52:53], s[20:21], -v[8:9]
	v_fma_f64 v[12:13], v[38:39], s[4:5], -v[12:13]
	v_fma_f64 v[38:39], v[24:25], s[18:19], v[18:19]
	v_fma_f64 v[18:19], v[4:5], s[6:7], -v[6:7]
	v_fma_f64 v[10:11], v[10:11], s[4:5], -v[50:51]
	v_fma_f64 v[46:47], v[24:25], s[18:19], v[46:47]
	v_add_f64 v[26:27], v[26:27], v[16:17]
	v_add_f64 v[20:21], v[42:43], v[36:37]
	v_fma_f64 v[42:43], v[22:23], s[18:19], v[56:57]
	v_add_f64 v[16:17], v[40:41], v[16:17]
	v_add_f64 v[40:41], v[14:15], v[36:37]
	v_fma_f64 v[8:9], v[22:23], s[18:19], v[8:9]
	v_fma_f64 v[12:13], v[24:25], s[18:19], v[12:13]
	v_add_f64 v[36:37], v[18:19], v[36:37]
	v_fma_f64 v[48:49], v[22:23], s[18:19], v[10:11]
	v_add_f64 v[6:7], v[46:47], v[26:27]
	v_add_f64 v[26:27], v[26:27], -v[46:47]
	v_add_f64 v[24:25], v[20:21], v[42:43]
	v_add_f64 v[4:5], v[20:21], -v[42:43]
	v_add_f64 v[22:23], v[44:45], -v[38:39]
	v_add_f64 v[20:21], v[40:41], v[8:9]
	v_add_f64 v[14:15], v[16:17], -v[12:13]
	v_add_f64 v[18:19], v[12:13], v[16:17]
	;; [unrolled: 2-line block ×3, first 2 shown]
	v_add_f64 v[10:11], v[38:39], v[44:45]
	v_add_f64 v[8:9], v[40:41], -v[8:9]
	s_movk_i32 s4, 0x70
	v_mad_i32_i24 v36, v34, s4, 0
	ds_write_b128 v36, v[0:3]
	ds_write_b128 v36, v[24:27] offset:16
	ds_write_b128 v36, v[20:23] offset:32
	;; [unrolled: 1-line block ×6, first 2 shown]
.LBB0_15:
	s_or_b64 exec, exec, s[14:15]
	v_mov_b32_e32 v0, 37
	v_mul_lo_u16_sdwa v0, v32, v0 dst_sel:DWORD dst_unused:UNUSED_PAD src0_sel:BYTE_0 src1_sel:DWORD
	v_sub_u16_sdwa v1, v32, v0 dst_sel:DWORD dst_unused:UNUSED_PAD src0_sel:DWORD src1_sel:BYTE_1
	v_lshrrev_b16_e32 v1, 1, v1
	v_and_b32_e32 v1, 0x7f, v1
	v_add_u16_sdwa v0, v1, v0 dst_sel:DWORD dst_unused:UNUSED_PAD src0_sel:DWORD src1_sel:BYTE_1
	v_lshrrev_b16_e32 v7, 2, v0
	v_mul_lo_u16_e32 v0, 7, v7
	v_sub_u16_e32 v8, v32, v0
	v_mov_b32_e32 v0, 7
	v_lshlrev_b32_sdwa v0, v0, v8 dst_sel:DWORD dst_unused:UNUSED_PAD src0_sel:DWORD src1_sel:BYTE_0
	s_waitcnt lgkmcnt(0)
	; wave barrier
	s_waitcnt lgkmcnt(0)
	global_load_dwordx4 v[9:12], v0, s[12:13]
	global_load_dwordx4 v[13:16], v0, s[12:13] offset:16
	global_load_dwordx4 v[17:20], v0, s[12:13] offset:32
	;; [unrolled: 1-line block ×7, first 2 shown]
	v_lshl_add_u32 v4, v34, 4, 0
	ds_read_b128 v[52:55], v4
	s_movk_i32 s4, 0xffa0
	v_mad_i32_i24 v5, v32, s4, v35
	ds_read_b128 v[0:3], v33
	ds_read_b128 v[56:59], v33 offset:3024
	ds_read_b128 v[60:63], v33 offset:8064
	;; [unrolled: 1-line block ×6, first 2 shown]
	s_mov_b32 s17, 0x3fe491b7
	s_mov_b32 s16, 0x523c161c
	;; [unrolled: 1-line block ×16, first 2 shown]
	v_mul_u32_u24_e32 v7, 0x3f0, v7
	v_add_u32_e32 v6, 0x7e, v32
	s_waitcnt vmcnt(7) lgkmcnt(7)
	v_mul_f64 v[25:26], v[54:55], v[11:12]
	v_mul_f64 v[11:12], v[52:53], v[11:12]
	s_waitcnt vmcnt(5) lgkmcnt(5)
	v_mul_f64 v[80:81], v[58:59], v[19:20]
	v_fma_f64 v[25:26], v[52:53], v[9:10], -v[25:26]
	v_fma_f64 v[52:53], v[54:55], v[9:10], v[11:12]
	ds_read_b128 v[9:12], v5 offset:2016
	s_waitcnt lgkmcnt(0)
	; wave barrier
	s_waitcnt lgkmcnt(0)
	v_mul_f64 v[54:55], v[11:12], v[15:16]
	v_mul_f64 v[15:16], v[9:10], v[15:16]
	v_fma_f64 v[9:10], v[9:10], v[13:14], -v[54:55]
	v_fma_f64 v[11:12], v[11:12], v[13:14], v[15:16]
	v_mul_f64 v[13:14], v[56:57], v[19:20]
	s_waitcnt vmcnt(4)
	v_mul_f64 v[15:16], v[66:67], v[23:24]
	v_mul_f64 v[19:20], v[64:65], v[23:24]
	v_fma_f64 v[54:55], v[56:57], v[17:18], -v[80:81]
	s_waitcnt vmcnt(1)
	v_mul_f64 v[56:57], v[62:63], v[46:47]
	v_mul_f64 v[46:47], v[60:61], v[46:47]
	;; [unrolled: 1-line block ×4, first 2 shown]
	v_fma_f64 v[13:14], v[58:59], v[17:18], v[13:14]
	v_mul_f64 v[17:18], v[78:79], v[42:43]
	v_mul_f64 v[42:43], v[76:77], v[42:43]
	v_fma_f64 v[58:59], v[64:65], v[21:22], -v[15:16]
	v_fma_f64 v[21:22], v[66:67], v[21:22], v[19:20]
	s_waitcnt vmcnt(0)
	v_mul_f64 v[15:16], v[74:75], v[50:51]
	v_mul_f64 v[19:20], v[72:73], v[50:51]
	v_fma_f64 v[50:51], v[60:61], v[44:45], -v[56:57]
	v_fma_f64 v[44:45], v[62:63], v[44:45], v[46:47]
	v_fma_f64 v[46:47], v[68:69], v[36:37], -v[23:24]
	v_fma_f64 v[17:18], v[76:77], v[40:41], -v[17:18]
	v_fma_f64 v[23:24], v[78:79], v[40:41], v[42:43]
	v_fma_f64 v[35:36], v[70:71], v[36:37], v[38:39]
	v_fma_f64 v[15:16], v[72:73], v[48:49], -v[15:16]
	v_fma_f64 v[19:20], v[74:75], v[48:49], v[19:20]
	v_add_f64 v[37:38], v[25:26], v[50:51]
	v_add_f64 v[39:40], v[52:53], -v[44:45]
	v_add_f64 v[25:26], v[25:26], -v[50:51]
	v_add_f64 v[41:42], v[52:53], v[44:45]
	v_add_f64 v[48:49], v[11:12], v[23:24]
	v_add_f64 v[11:12], v[11:12], -v[23:24]
	v_add_f64 v[52:53], v[54:55], v[15:16]
	v_add_f64 v[56:57], v[13:14], v[19:20]
	v_add_f64 v[50:51], v[54:55], -v[15:16]
	v_mul_f64 v[23:24], v[39:40], s[16:17]
	v_add_f64 v[54:55], v[13:14], -v[19:20]
	v_add_f64 v[19:20], v[21:22], -v[35:36]
	v_mul_f64 v[60:61], v[25:26], s[16:17]
	s_mov_b32 s17, 0xbfe491b7
	v_add_f64 v[43:44], v[9:10], v[17:18]
	v_add_f64 v[9:10], v[9:10], -v[17:18]
	v_add_f64 v[15:16], v[58:59], v[46:47]
	v_fma_f64 v[23:24], v[11:12], s[22:23], v[23:24]
	v_add_f64 v[17:18], v[21:22], v[35:36]
	v_mul_f64 v[70:71], v[19:20], s[16:17]
	v_add_f64 v[13:14], v[58:59], -v[46:47]
	v_fma_f64 v[62:63], v[37:38], s[20:21], v[0:1]
	v_fma_f64 v[64:65], v[41:42], s[20:21], v[2:3]
	v_add_f64 v[74:75], v[19:20], v[39:40]
	v_fma_f64 v[66:67], v[15:16], s[20:21], v[0:1]
	v_fma_f64 v[23:24], v[54:55], s[4:5], v[23:24]
	;; [unrolled: 1-line block ×4, first 2 shown]
	v_mul_f64 v[82:83], v[19:20], s[22:23]
	v_fma_f64 v[60:61], v[9:10], s[22:23], v[60:61]
	v_fma_f64 v[62:63], v[43:44], s[18:19], v[62:63]
	;; [unrolled: 1-line block ×5, first 2 shown]
	v_mul_f64 v[23:24], v[13:14], s[16:17]
	v_fma_f64 v[68:69], v[41:42], s[18:19], v[68:69]
	v_fma_f64 v[70:71], v[54:55], s[6:7], v[70:71]
	;; [unrolled: 1-line block ×3, first 2 shown]
	v_fma_f64 v[62:63], v[52:53], -0.5, v[62:63]
	v_fma_f64 v[64:65], v[56:57], -0.5, v[64:65]
	v_add_f64 v[74:75], v[74:75], -v[11:12]
	v_fma_f64 v[82:83], v[11:12], s[16:17], -v[82:83]
	v_fma_f64 v[23:24], v[25:26], s[22:23], v[23:24]
	v_fma_f64 v[66:67], v[52:53], -0.5, v[66:67]
	v_fma_f64 v[70:71], v[11:12], s[8:9], v[70:71]
	v_fma_f64 v[11:12], v[56:57], -0.5, v[68:69]
	v_add_f64 v[72:73], v[13:14], v[25:26]
	v_fma_f64 v[60:61], v[13:14], s[8:9], v[60:61]
	v_mul_f64 v[13:14], v[13:14], s[22:23]
	v_fma_f64 v[62:63], v[15:16], s[14:15], v[62:63]
	v_fma_f64 v[23:24], v[50:51], s[6:7], v[23:24]
	;; [unrolled: 1-line block ×3, first 2 shown]
	v_add_f64 v[80:81], v[43:44], v[37:38]
	v_add_f64 v[84:85], v[48:49], v[41:42]
	v_fma_f64 v[66:67], v[43:44], s[14:15], v[66:67]
	v_fma_f64 v[43:44], v[43:44], s[20:21], v[0:1]
	;; [unrolled: 1-line block ×4, first 2 shown]
	v_add_f64 v[72:73], v[72:73], -v[9:10]
	v_fma_f64 v[86:87], v[9:10], s[16:17], -v[13:14]
	v_fma_f64 v[88:89], v[9:10], s[8:9], v[23:24]
	v_add_f64 v[9:10], v[19:20], v[62:63]
	v_add_f64 v[11:12], v[64:65], -v[60:61]
	v_fma_f64 v[43:44], v[15:16], s[18:19], v[43:44]
	v_add_f64 v[76:77], v[0:1], v[52:53]
	v_fma_f64 v[48:49], v[17:18], s[18:19], v[48:49]
	v_add_f64 v[78:79], v[2:3], v[56:57]
	v_add_f64 v[23:24], v[15:16], v[80:81]
	;; [unrolled: 1-line block ×3, first 2 shown]
	v_fma_f64 v[17:18], v[19:20], -2.0, v[9:10]
	v_fma_f64 v[19:20], v[60:61], 2.0, v[11:12]
	v_fma_f64 v[50:51], v[50:51], s[4:5], v[86:87]
	v_fma_f64 v[54:55], v[54:55], s[4:5], v[82:83]
	v_add_f64 v[60:61], v[52:53], v[80:81]
	v_add_f64 v[64:65], v[56:57], v[84:85]
	v_fma_f64 v[43:44], v[52:53], -0.5, v[43:44]
	v_fma_f64 v[48:49], v[56:57], -0.5, v[48:49]
	;; [unrolled: 1-line block ×4, first 2 shown]
	v_fma_f64 v[25:26], v[25:26], s[8:9], v[50:51]
	v_fma_f64 v[50:51], v[39:40], s[8:9], v[54:55]
	v_add_f64 v[39:40], v[58:59], v[60:61]
	v_add_f64 v[54:55], v[21:22], v[64:65]
	v_fma_f64 v[37:38], v[37:38], s[14:15], v[43:44]
	v_fma_f64 v[41:42], v[41:42], s[14:15], v[48:49]
	;; [unrolled: 1-line block ×4, first 2 shown]
	v_mul_f64 v[48:49], v[72:73], s[4:5]
	v_mul_f64 v[43:44], v[74:75], s[4:5]
	v_add_f64 v[52:53], v[46:47], v[39:40]
	v_add_f64 v[54:55], v[35:36], v[54:55]
	v_add_f64 v[35:36], v[50:51], v[37:38]
	v_add_f64 v[37:38], v[41:42], -v[25:26]
	v_add_f64 v[13:14], v[70:71], v[66:67]
	v_add_f64 v[15:16], v[68:69], -v[88:89]
	v_fma_f64 v[45:46], v[48:49], 2.0, v[23:24]
	v_fma_f64 v[43:44], v[43:44], -2.0, v[21:22]
	v_add_f64 v[0:1], v[0:1], v[52:53]
	v_add_f64 v[2:3], v[2:3], v[54:55]
	v_fma_f64 v[47:48], v[50:51], -2.0, v[35:36]
	v_fma_f64 v[49:50], v[25:26], 2.0, v[37:38]
	v_mov_b32_e32 v25, 4
	v_lshlrev_b32_sdwa v8, v25, v8 dst_sel:DWORD dst_unused:UNUSED_PAD src0_sel:DWORD src1_sel:BYTE_0
	v_fma_f64 v[39:40], v[70:71], -2.0, v[13:14]
	v_fma_f64 v[41:42], v[88:89], 2.0, v[15:16]
	v_add3_u32 v7, 0, v7, v8
	ds_write_b128 v7, v[0:3]
	ds_write_b128 v7, v[9:12] offset:112
	ds_write_b128 v7, v[13:16] offset:224
	;; [unrolled: 1-line block ×8, first 2 shown]
	v_lshlrev_b32_e32 v0, 1, v32
	v_mov_b32_e32 v1, 0
	v_lshlrev_b64 v[7:8], 4, v[0:1]
	v_mov_b32_e32 v0, 5
	v_mov_b32_e32 v2, s13
	v_add_co_u32_e32 v67, vcc, s12, v7
	v_mul_lo_u16_sdwa v0, v6, v0 dst_sel:DWORD dst_unused:UNUSED_PAD src0_sel:BYTE_0 src1_sel:DWORD
	v_addc_co_u32_e32 v68, vcc, v2, v8, vcc
	v_sub_u16_sdwa v3, v6, v0 dst_sel:DWORD dst_unused:UNUSED_PAD src0_sel:DWORD src1_sel:BYTE_1
	s_waitcnt lgkmcnt(0)
	; wave barrier
	s_waitcnt lgkmcnt(0)
	global_load_dwordx4 v[7:10], v[67:68], off offset:912
	global_load_dwordx4 v[11:14], v[67:68], off offset:896
	v_lshrrev_b16_e32 v3, 1, v3
	v_and_b32_e32 v3, 0x7f, v3
	v_add_u16_sdwa v0, v3, v0 dst_sel:DWORD dst_unused:UNUSED_PAD src0_sel:DWORD src1_sel:BYTE_1
	v_lshrrev_b16_e32 v0, 5, v0
	v_mul_lo_u16_e32 v0, 63, v0
	v_sub_u16_e32 v0, v6, v0
	v_and_b32_e32 v0, 0xff, v0
	v_lshlrev_b32_e32 v3, 5, v0
	global_load_dwordx4 v[15:18], v3, s[12:13] offset:896
	global_load_dwordx4 v[19:22], v3, s[12:13] offset:912
	ds_read_b128 v[23:26], v33
	ds_read_b128 v[35:38], v33 offset:3024
	ds_read_b128 v[39:42], v33 offset:6048
	;; [unrolled: 1-line block ×6, first 2 shown]
	ds_read_b128 v[59:62], v4
	ds_read_b128 v[63:66], v33 offset:8064
	s_mov_b32 s4, 0xe8584caa
	s_mov_b32 s6, s4
	v_lshl_add_u32 v0, v0, 4, 0
	s_waitcnt lgkmcnt(0)
	; wave barrier
	s_waitcnt vmcnt(3) lgkmcnt(0)
	v_mul_f64 v[73:74], v[41:42], v[9:10]
	s_waitcnt vmcnt(2)
	v_mul_f64 v[69:70], v[37:38], v[13:14]
	v_mul_f64 v[71:72], v[35:36], v[13:14]
	;; [unrolled: 1-line block ×7, first 2 shown]
	v_fma_f64 v[39:40], v[39:40], v[7:8], -v[73:74]
	v_fma_f64 v[35:36], v[35:36], v[11:12], -v[69:70]
	v_fma_f64 v[37:38], v[37:38], v[11:12], v[71:72]
	s_waitcnt vmcnt(1)
	v_mul_f64 v[69:70], v[57:58], v[17:18]
	v_fma_f64 v[41:42], v[41:42], v[7:8], v[75:76]
	v_mul_f64 v[17:18], v[55:56], v[17:18]
	s_waitcnt vmcnt(0)
	v_mul_f64 v[71:72], v[65:66], v[21:22]
	v_fma_f64 v[51:52], v[51:52], v[11:12], -v[77:78]
	v_fma_f64 v[53:54], v[53:54], v[11:12], v[13:14]
	v_mul_f64 v[11:12], v[63:64], v[21:22]
	v_fma_f64 v[21:22], v[43:44], v[7:8], -v[79:80]
	v_fma_f64 v[43:44], v[45:46], v[7:8], v[9:10]
	v_fma_f64 v[45:46], v[55:56], v[15:16], -v[69:70]
	v_fma_f64 v[55:56], v[57:58], v[15:16], v[17:18]
	v_add_f64 v[7:8], v[35:36], v[39:40]
	v_fma_f64 v[57:58], v[63:64], v[19:20], -v[71:72]
	v_add_f64 v[9:10], v[37:38], v[41:42]
	v_fma_f64 v[63:64], v[65:66], v[19:20], v[11:12]
	v_add_f64 v[11:12], v[23:24], v[35:36]
	v_add_f64 v[17:18], v[51:52], v[21:22]
	;; [unrolled: 1-line block ×3, first 2 shown]
	v_add_f64 v[13:14], v[37:38], -v[41:42]
	v_fma_f64 v[19:20], v[7:8], -0.5, v[23:24]
	v_add_f64 v[23:24], v[35:36], -v[39:40]
	v_fma_f64 v[25:26], v[9:10], -0.5, v[25:26]
	v_add_f64 v[35:36], v[59:60], v[51:52]
	v_add_f64 v[37:38], v[53:54], -v[43:44]
	v_add_f64 v[7:8], v[11:12], v[39:40]
	v_fma_f64 v[39:40], v[17:18], -0.5, v[59:60]
	v_add_f64 v[9:10], v[15:16], v[41:42]
	v_add_f64 v[41:42], v[53:54], v[43:44]
	v_fma_f64 v[11:12], v[13:14], s[4:5], v[19:20]
	v_fma_f64 v[15:16], v[13:14], s[6:7], v[19:20]
	;; [unrolled: 1-line block ×4, first 2 shown]
	v_add_f64 v[19:20], v[35:36], v[21:22]
	v_add_f64 v[25:26], v[45:46], v[57:58]
	v_fma_f64 v[23:24], v[37:38], s[4:5], v[39:40]
	v_fma_f64 v[35:36], v[37:38], s[6:7], v[39:40]
	v_add_f64 v[37:38], v[55:56], v[63:64]
	v_add_f64 v[39:40], v[61:62], v[53:54]
	v_fma_f64 v[41:42], v[41:42], -0.5, v[61:62]
	v_add_f64 v[51:52], v[51:52], -v[21:22]
	v_add_f64 v[53:54], v[47:48], v[45:46]
	v_add_f64 v[59:60], v[55:56], -v[63:64]
	v_add_f64 v[55:56], v[49:50], v[55:56]
	v_fma_f64 v[47:48], v[25:26], -0.5, v[47:48]
	v_fma_f64 v[49:50], v[37:38], -0.5, v[49:50]
	v_add_f64 v[61:62], v[45:46], -v[57:58]
	v_add_f64 v[21:22], v[39:40], v[43:44]
	v_fma_f64 v[25:26], v[51:52], s[6:7], v[41:42]
	v_fma_f64 v[37:38], v[51:52], s[4:5], v[41:42]
	v_add_f64 v[39:40], v[53:54], v[57:58]
	v_add_f64 v[41:42], v[55:56], v[63:64]
	v_fma_f64 v[43:44], v[59:60], s[4:5], v[47:48]
	v_fma_f64 v[47:48], v[59:60], s[6:7], v[47:48]
	;; [unrolled: 1-line block ×4, first 2 shown]
	ds_write_b128 v33, v[7:10]
	ds_write_b128 v33, v[11:14] offset:1008
	ds_write_b128 v33, v[15:18] offset:2016
	;; [unrolled: 1-line block ×8, first 2 shown]
	s_waitcnt lgkmcnt(0)
	; wave barrier
	s_waitcnt lgkmcnt(0)
	global_load_dwordx4 v[7:10], v[67:68], off offset:2928
	global_load_dwordx4 v[11:14], v[67:68], off offset:2912
	v_lshlrev_b32_e32 v0, 1, v34
	v_lshlrev_b64 v[15:16], 4, v[0:1]
	v_lshlrev_b32_e32 v0, 1, v6
	v_add_co_u32_e32 v23, vcc, s12, v15
	v_addc_co_u32_e32 v24, vcc, v2, v16, vcc
	global_load_dwordx4 v[15:18], v[23:24], off offset:2928
	global_load_dwordx4 v[19:22], v[23:24], off offset:2912
	v_lshlrev_b64 v[23:24], 4, v[0:1]
	v_add_co_u32_e32 v38, vcc, s12, v23
	v_addc_co_u32_e32 v39, vcc, v2, v24, vcc
	global_load_dwordx4 v[23:26], v[38:39], off offset:2912
	global_load_dwordx4 v[34:37], v[38:39], off offset:2928
	ds_read_b128 v[38:41], v33
	ds_read_b128 v[42:45], v33 offset:3024
	ds_read_b128 v[46:49], v33 offset:6048
	;; [unrolled: 1-line block ×6, first 2 shown]
	ds_read_b128 v[66:69], v4
	ds_read_b128 v[70:73], v33 offset:8064
	s_waitcnt lgkmcnt(0)
	; wave barrier
	s_waitcnt vmcnt(5) lgkmcnt(0)
	v_mul_f64 v[74:75], v[48:49], v[9:10]
	s_waitcnt vmcnt(4)
	v_mul_f64 v[2:3], v[44:45], v[13:14]
	v_mul_f64 v[13:14], v[42:43], v[13:14]
	;; [unrolled: 1-line block ×3, first 2 shown]
	s_waitcnt vmcnt(2)
	v_mul_f64 v[76:77], v[60:61], v[21:22]
	v_fma_f64 v[2:3], v[42:43], v[11:12], -v[2:3]
	v_fma_f64 v[11:12], v[44:45], v[11:12], v[13:14]
	v_mul_f64 v[13:14], v[52:53], v[17:18]
	v_mul_f64 v[21:22], v[58:59], v[21:22]
	;; [unrolled: 1-line block ×3, first 2 shown]
	v_fma_f64 v[44:45], v[46:47], v[7:8], -v[74:75]
	v_fma_f64 v[8:9], v[48:49], v[7:8], v[9:10]
	s_waitcnt vmcnt(1)
	v_mul_f64 v[42:43], v[64:65], v[25:26]
	v_mul_f64 v[25:26], v[62:63], v[25:26]
	s_waitcnt vmcnt(0)
	v_mul_f64 v[6:7], v[72:73], v[36:37]
	v_mul_f64 v[36:37], v[70:71], v[36:37]
	v_fma_f64 v[46:47], v[58:59], v[19:20], -v[76:77]
	v_fma_f64 v[13:14], v[50:51], v[15:16], -v[13:14]
	v_fma_f64 v[19:20], v[60:61], v[19:20], v[21:22]
	v_fma_f64 v[48:49], v[52:53], v[15:16], v[17:18]
	v_add_f64 v[15:16], v[2:3], v[44:45]
	v_add_f64 v[17:18], v[11:12], -v[8:9]
	v_add_f64 v[21:22], v[40:41], v[11:12]
	v_add_f64 v[10:11], v[11:12], v[8:9]
	v_fma_f64 v[42:43], v[62:63], v[23:24], -v[42:43]
	v_fma_f64 v[24:25], v[64:65], v[23:24], v[25:26]
	v_fma_f64 v[26:27], v[70:71], v[34:35], -v[6:7]
	v_fma_f64 v[50:51], v[72:73], v[34:35], v[36:37]
	v_add_f64 v[36:37], v[46:47], v[13:14]
	v_add_f64 v[6:7], v[38:39], v[2:3]
	v_add_f64 v[52:53], v[19:20], -v[48:49]
	v_add_f64 v[58:59], v[68:69], v[19:20]
	v_add_f64 v[19:20], v[19:20], v[48:49]
	v_add_f64 v[2:3], v[2:3], -v[44:45]
	v_add_f64 v[34:35], v[66:67], v[46:47]
	v_fma_f64 v[38:39], v[15:16], -0.5, v[38:39]
	v_fma_f64 v[40:41], v[10:11], -0.5, v[40:41]
	v_add_f64 v[62:63], v[42:43], v[26:27]
	v_add_f64 v[64:65], v[24:25], v[50:51]
	v_fma_f64 v[36:37], v[36:37], -0.5, v[66:67]
	v_add_f64 v[46:47], v[46:47], -v[13:14]
	v_add_f64 v[6:7], v[6:7], v[44:45]
	v_fma_f64 v[44:45], v[19:20], -0.5, v[68:69]
	v_add_f64 v[60:61], v[54:55], v[42:43]
	v_add_f64 v[8:9], v[21:22], v[8:9]
	;; [unrolled: 1-line block ×3, first 2 shown]
	v_fma_f64 v[14:15], v[17:18], s[4:5], v[38:39]
	v_fma_f64 v[18:19], v[17:18], s[6:7], v[38:39]
	;; [unrolled: 1-line block ×4, first 2 shown]
	v_add_f64 v[40:41], v[56:57], v[24:25]
	v_fma_f64 v[54:55], v[62:63], -0.5, v[54:55]
	v_fma_f64 v[22:23], v[52:53], s[4:5], v[36:37]
	v_fma_f64 v[34:35], v[52:53], s[6:7], v[36:37]
	v_add_f64 v[2:3], v[24:25], -v[50:51]
	v_fma_f64 v[52:53], v[64:65], -0.5, v[56:57]
	v_add_f64 v[56:57], v[42:43], -v[26:27]
	v_add_f64 v[12:13], v[58:59], v[48:49]
	v_fma_f64 v[24:25], v[46:47], s[6:7], v[44:45]
	v_fma_f64 v[36:37], v[46:47], s[4:5], v[44:45]
	v_add_f64 v[38:39], v[60:61], v[26:27]
	v_add_f64 v[40:41], v[40:41], v[50:51]
	v_fma_f64 v[42:43], v[2:3], s[4:5], v[54:55]
	v_fma_f64 v[46:47], v[2:3], s[6:7], v[54:55]
	;; [unrolled: 1-line block ×4, first 2 shown]
	ds_write_b128 v33, v[6:9]
	ds_write_b128 v33, v[14:17] offset:3024
	ds_write_b128 v33, v[18:21] offset:6048
	ds_write_b128 v4, v[10:13]
	ds_write_b128 v4, v[22:25] offset:3024
	ds_write_b128 v4, v[34:37] offset:6048
	;; [unrolled: 1-line block ×5, first 2 shown]
	s_waitcnt lgkmcnt(0)
	; wave barrier
	s_waitcnt lgkmcnt(0)
	s_and_saveexec_b64 s[4:5], s[0:1]
	s_cbranch_execz .LBB0_17
; %bb.16:
	v_mul_lo_u32 v0, s3, v30
	v_mul_lo_u32 v2, s2, v31
	v_mad_u64_u32 v[6:7], s[0:1], s2, v30, 0
	v_lshl_add_u32 v12, v32, 4, 0
	v_mov_b32_e32 v33, v1
	v_add3_u32 v7, v7, v2, v0
	v_lshlrev_b64 v[6:7], 4, v[6:7]
	v_mov_b32_e32 v0, s11
	v_add_co_u32_e32 v8, vcc, s10, v6
	v_addc_co_u32_e32 v0, vcc, v0, v7, vcc
	v_lshlrev_b64 v[6:7], 4, v[28:29]
	ds_read_b128 v[2:5], v12
	v_add_co_u32_e32 v13, vcc, v8, v6
	v_addc_co_u32_e32 v14, vcc, v0, v7, vcc
	v_lshlrev_b64 v[6:7], 4, v[32:33]
	v_add_u32_e32 v0, 63, v32
	v_add_co_u32_e32 v10, vcc, v13, v6
	v_addc_co_u32_e32 v11, vcc, v14, v7, vcc
	ds_read_b128 v[6:9], v12 offset:1008
	s_waitcnt lgkmcnt(1)
	global_store_dwordx4 v[10:11], v[2:5], off
	s_nop 0
	v_lshlrev_b64 v[2:3], 4, v[0:1]
	v_add_u32_e32 v0, 0x7e, v32
	v_add_co_u32_e32 v2, vcc, v13, v2
	v_addc_co_u32_e32 v3, vcc, v14, v3, vcc
	s_waitcnt lgkmcnt(0)
	global_store_dwordx4 v[2:3], v[6:9], off
	ds_read_b128 v[2:5], v12 offset:2016
	v_lshlrev_b64 v[6:7], 4, v[0:1]
	v_add_u32_e32 v0, 0xbd, v32
	v_add_co_u32_e32 v10, vcc, v13, v6
	v_addc_co_u32_e32 v11, vcc, v14, v7, vcc
	ds_read_b128 v[6:9], v12 offset:3024
	s_waitcnt lgkmcnt(1)
	global_store_dwordx4 v[10:11], v[2:5], off
	s_nop 0
	v_lshlrev_b64 v[2:3], 4, v[0:1]
	v_add_u32_e32 v0, 0xfc, v32
	v_add_co_u32_e32 v2, vcc, v13, v2
	v_addc_co_u32_e32 v3, vcc, v14, v3, vcc
	s_waitcnt lgkmcnt(0)
	global_store_dwordx4 v[2:3], v[6:9], off
	ds_read_b128 v[2:5], v12 offset:4032
	;; [unrolled: 15-line block ×4, first 2 shown]
	v_lshlrev_b64 v[0:1], 4, v[0:1]
	v_add_co_u32_e32 v0, vcc, v13, v0
	v_addc_co_u32_e32 v1, vcc, v14, v1, vcc
	s_waitcnt lgkmcnt(0)
	global_store_dwordx4 v[0:1], v[2:5], off
.LBB0_17:
	s_endpgm
	.section	.rodata,"a",@progbits
	.p2align	6, 0x0
	.amdhsa_kernel fft_rtc_fwd_len567_factors_7_9_3_3_wgs_63_tpt_63_dp_op_CI_CI_unitstride_sbrr_dirReg
		.amdhsa_group_segment_fixed_size 0
		.amdhsa_private_segment_fixed_size 0
		.amdhsa_kernarg_size 104
		.amdhsa_user_sgpr_count 6
		.amdhsa_user_sgpr_private_segment_buffer 1
		.amdhsa_user_sgpr_dispatch_ptr 0
		.amdhsa_user_sgpr_queue_ptr 0
		.amdhsa_user_sgpr_kernarg_segment_ptr 1
		.amdhsa_user_sgpr_dispatch_id 0
		.amdhsa_user_sgpr_flat_scratch_init 0
		.amdhsa_user_sgpr_private_segment_size 0
		.amdhsa_uses_dynamic_stack 0
		.amdhsa_system_sgpr_private_segment_wavefront_offset 0
		.amdhsa_system_sgpr_workgroup_id_x 1
		.amdhsa_system_sgpr_workgroup_id_y 0
		.amdhsa_system_sgpr_workgroup_id_z 0
		.amdhsa_system_sgpr_workgroup_info 0
		.amdhsa_system_vgpr_workitem_id 0
		.amdhsa_next_free_vgpr 90
		.amdhsa_next_free_sgpr 30
		.amdhsa_reserve_vcc 1
		.amdhsa_reserve_flat_scratch 0
		.amdhsa_float_round_mode_32 0
		.amdhsa_float_round_mode_16_64 0
		.amdhsa_float_denorm_mode_32 3
		.amdhsa_float_denorm_mode_16_64 3
		.amdhsa_dx10_clamp 1
		.amdhsa_ieee_mode 1
		.amdhsa_fp16_overflow 0
		.amdhsa_exception_fp_ieee_invalid_op 0
		.amdhsa_exception_fp_denorm_src 0
		.amdhsa_exception_fp_ieee_div_zero 0
		.amdhsa_exception_fp_ieee_overflow 0
		.amdhsa_exception_fp_ieee_underflow 0
		.amdhsa_exception_fp_ieee_inexact 0
		.amdhsa_exception_int_div_zero 0
	.end_amdhsa_kernel
	.text
.Lfunc_end0:
	.size	fft_rtc_fwd_len567_factors_7_9_3_3_wgs_63_tpt_63_dp_op_CI_CI_unitstride_sbrr_dirReg, .Lfunc_end0-fft_rtc_fwd_len567_factors_7_9_3_3_wgs_63_tpt_63_dp_op_CI_CI_unitstride_sbrr_dirReg
                                        ; -- End function
	.section	.AMDGPU.csdata,"",@progbits
; Kernel info:
; codeLenInByte = 6936
; NumSgprs: 34
; NumVgprs: 90
; ScratchSize: 0
; MemoryBound: 0
; FloatMode: 240
; IeeeMode: 1
; LDSByteSize: 0 bytes/workgroup (compile time only)
; SGPRBlocks: 4
; VGPRBlocks: 22
; NumSGPRsForWavesPerEU: 34
; NumVGPRsForWavesPerEU: 90
; Occupancy: 2
; WaveLimiterHint : 1
; COMPUTE_PGM_RSRC2:SCRATCH_EN: 0
; COMPUTE_PGM_RSRC2:USER_SGPR: 6
; COMPUTE_PGM_RSRC2:TRAP_HANDLER: 0
; COMPUTE_PGM_RSRC2:TGID_X_EN: 1
; COMPUTE_PGM_RSRC2:TGID_Y_EN: 0
; COMPUTE_PGM_RSRC2:TGID_Z_EN: 0
; COMPUTE_PGM_RSRC2:TIDIG_COMP_CNT: 0
	.type	__hip_cuid_9304a2f6651ff816,@object ; @__hip_cuid_9304a2f6651ff816
	.section	.bss,"aw",@nobits
	.globl	__hip_cuid_9304a2f6651ff816
__hip_cuid_9304a2f6651ff816:
	.byte	0                               ; 0x0
	.size	__hip_cuid_9304a2f6651ff816, 1

	.ident	"AMD clang version 19.0.0git (https://github.com/RadeonOpenCompute/llvm-project roc-6.4.0 25133 c7fe45cf4b819c5991fe208aaa96edf142730f1d)"
	.section	".note.GNU-stack","",@progbits
	.addrsig
	.addrsig_sym __hip_cuid_9304a2f6651ff816
	.amdgpu_metadata
---
amdhsa.kernels:
  - .args:
      - .actual_access:  read_only
        .address_space:  global
        .offset:         0
        .size:           8
        .value_kind:     global_buffer
      - .offset:         8
        .size:           8
        .value_kind:     by_value
      - .actual_access:  read_only
        .address_space:  global
        .offset:         16
        .size:           8
        .value_kind:     global_buffer
      - .actual_access:  read_only
        .address_space:  global
        .offset:         24
        .size:           8
        .value_kind:     global_buffer
      - .actual_access:  read_only
        .address_space:  global
        .offset:         32
        .size:           8
        .value_kind:     global_buffer
      - .offset:         40
        .size:           8
        .value_kind:     by_value
      - .actual_access:  read_only
        .address_space:  global
        .offset:         48
        .size:           8
        .value_kind:     global_buffer
      - .actual_access:  read_only
        .address_space:  global
        .offset:         56
        .size:           8
        .value_kind:     global_buffer
      - .offset:         64
        .size:           4
        .value_kind:     by_value
      - .actual_access:  read_only
        .address_space:  global
        .offset:         72
        .size:           8
        .value_kind:     global_buffer
      - .actual_access:  read_only
        .address_space:  global
        .offset:         80
        .size:           8
        .value_kind:     global_buffer
      - .actual_access:  read_only
        .address_space:  global
        .offset:         88
        .size:           8
        .value_kind:     global_buffer
      - .actual_access:  write_only
        .address_space:  global
        .offset:         96
        .size:           8
        .value_kind:     global_buffer
    .group_segment_fixed_size: 0
    .kernarg_segment_align: 8
    .kernarg_segment_size: 104
    .language:       OpenCL C
    .language_version:
      - 2
      - 0
    .max_flat_workgroup_size: 63
    .name:           fft_rtc_fwd_len567_factors_7_9_3_3_wgs_63_tpt_63_dp_op_CI_CI_unitstride_sbrr_dirReg
    .private_segment_fixed_size: 0
    .sgpr_count:     34
    .sgpr_spill_count: 0
    .symbol:         fft_rtc_fwd_len567_factors_7_9_3_3_wgs_63_tpt_63_dp_op_CI_CI_unitstride_sbrr_dirReg.kd
    .uniform_work_group_size: 1
    .uses_dynamic_stack: false
    .vgpr_count:     90
    .vgpr_spill_count: 0
    .wavefront_size: 64
amdhsa.target:   amdgcn-amd-amdhsa--gfx906
amdhsa.version:
  - 1
  - 2
...

	.end_amdgpu_metadata
